;; amdgpu-corpus repo=ROCm/rocFFT kind=compiled arch=gfx950 opt=O3
	.text
	.amdgcn_target "amdgcn-amd-amdhsa--gfx950"
	.amdhsa_code_object_version 6
	.protected	fft_rtc_back_len600_factors_10_6_10_wgs_60_tpt_60_halfLds_sp_ip_CI_unitstride_sbrr_R2C_dirReg ; -- Begin function fft_rtc_back_len600_factors_10_6_10_wgs_60_tpt_60_halfLds_sp_ip_CI_unitstride_sbrr_R2C_dirReg
	.globl	fft_rtc_back_len600_factors_10_6_10_wgs_60_tpt_60_halfLds_sp_ip_CI_unitstride_sbrr_R2C_dirReg
	.p2align	8
	.type	fft_rtc_back_len600_factors_10_6_10_wgs_60_tpt_60_halfLds_sp_ip_CI_unitstride_sbrr_R2C_dirReg,@function
fft_rtc_back_len600_factors_10_6_10_wgs_60_tpt_60_halfLds_sp_ip_CI_unitstride_sbrr_R2C_dirReg: ; @fft_rtc_back_len600_factors_10_6_10_wgs_60_tpt_60_halfLds_sp_ip_CI_unitstride_sbrr_R2C_dirReg
; %bb.0:
	s_load_dwordx2 s[8:9], s[0:1], 0x50
	s_load_dwordx4 s[4:7], s[0:1], 0x0
	s_load_dwordx2 s[10:11], s[0:1], 0x18
	v_mul_u32_u24_e32 v1, 0x445, v0
	v_add_u32_sdwa v6, s2, v1 dst_sel:DWORD dst_unused:UNUSED_PAD src0_sel:DWORD src1_sel:WORD_1
	v_mov_b32_e32 v4, 0
	s_waitcnt lgkmcnt(0)
	v_cmp_lt_u64_e64 s[2:3], s[6:7], 2
	v_mov_b32_e32 v7, v4
	s_and_b64 vcc, exec, s[2:3]
	v_mov_b64_e32 v[2:3], 0
	s_cbranch_vccnz .LBB0_8
; %bb.1:
	s_load_dwordx2 s[2:3], s[0:1], 0x10
	s_add_u32 s12, s10, 8
	s_addc_u32 s13, s11, 0
	s_mov_b64 s[14:15], 1
	v_mov_b64_e32 v[2:3], 0
	s_waitcnt lgkmcnt(0)
	s_add_u32 s16, s2, 8
	s_addc_u32 s17, s3, 0
.LBB0_2:                                ; =>This Inner Loop Header: Depth=1
	s_load_dwordx2 s[18:19], s[16:17], 0x0
                                        ; implicit-def: $vgpr8_vgpr9
	s_waitcnt lgkmcnt(0)
	v_or_b32_e32 v5, s19, v7
	v_cmp_ne_u64_e32 vcc, 0, v[4:5]
	s_and_saveexec_b64 s[2:3], vcc
	s_xor_b64 s[20:21], exec, s[2:3]
	s_cbranch_execz .LBB0_4
; %bb.3:                                ;   in Loop: Header=BB0_2 Depth=1
	v_cvt_f32_u32_e32 v1, s18
	v_cvt_f32_u32_e32 v5, s19
	s_sub_u32 s2, 0, s18
	s_subb_u32 s3, 0, s19
	v_fmac_f32_e32 v1, 0x4f800000, v5
	v_rcp_f32_e32 v1, v1
	s_nop 0
	v_mul_f32_e32 v1, 0x5f7ffffc, v1
	v_mul_f32_e32 v5, 0x2f800000, v1
	v_trunc_f32_e32 v5, v5
	v_fmac_f32_e32 v1, 0xcf800000, v5
	v_cvt_u32_f32_e32 v5, v5
	v_cvt_u32_f32_e32 v1, v1
	v_mul_lo_u32 v8, s2, v5
	v_mul_hi_u32 v10, s2, v1
	v_mul_lo_u32 v9, s3, v1
	v_add_u32_e32 v10, v10, v8
	v_mul_lo_u32 v12, s2, v1
	v_add_u32_e32 v13, v10, v9
	v_mul_hi_u32 v8, v1, v12
	v_mul_hi_u32 v11, v1, v13
	v_mul_lo_u32 v10, v1, v13
	v_mov_b32_e32 v9, v4
	v_lshl_add_u64 v[8:9], v[8:9], 0, v[10:11]
	v_mul_hi_u32 v11, v5, v12
	v_mul_lo_u32 v12, v5, v12
	v_add_co_u32_e32 v8, vcc, v8, v12
	v_mul_hi_u32 v10, v5, v13
	s_nop 0
	v_addc_co_u32_e32 v8, vcc, v9, v11, vcc
	v_mov_b32_e32 v9, v4
	s_nop 0
	v_addc_co_u32_e32 v11, vcc, 0, v10, vcc
	v_mul_lo_u32 v10, v5, v13
	v_lshl_add_u64 v[8:9], v[8:9], 0, v[10:11]
	v_add_co_u32_e32 v1, vcc, v1, v8
	v_mul_lo_u32 v10, s2, v1
	s_nop 0
	v_addc_co_u32_e32 v5, vcc, v5, v9, vcc
	v_mul_lo_u32 v8, s2, v5
	v_mul_hi_u32 v9, s2, v1
	v_add_u32_e32 v8, v9, v8
	v_mul_lo_u32 v9, s3, v1
	v_add_u32_e32 v12, v8, v9
	v_mul_hi_u32 v14, v5, v10
	v_mul_lo_u32 v15, v5, v10
	v_mul_hi_u32 v9, v1, v12
	v_mul_lo_u32 v8, v1, v12
	v_mul_hi_u32 v10, v1, v10
	v_mov_b32_e32 v11, v4
	v_lshl_add_u64 v[8:9], v[10:11], 0, v[8:9]
	v_add_co_u32_e32 v8, vcc, v8, v15
	v_mul_hi_u32 v13, v5, v12
	s_nop 0
	v_addc_co_u32_e32 v8, vcc, v9, v14, vcc
	v_mul_lo_u32 v10, v5, v12
	s_nop 0
	v_addc_co_u32_e32 v11, vcc, 0, v13, vcc
	v_mov_b32_e32 v9, v4
	v_lshl_add_u64 v[8:9], v[8:9], 0, v[10:11]
	v_add_co_u32_e32 v1, vcc, v1, v8
	v_mul_hi_u32 v10, v6, v1
	s_nop 0
	v_addc_co_u32_e32 v5, vcc, v5, v9, vcc
	v_mad_u64_u32 v[8:9], s[2:3], v6, v5, 0
	v_mov_b32_e32 v11, v4
	v_lshl_add_u64 v[8:9], v[10:11], 0, v[8:9]
	v_mad_u64_u32 v[12:13], s[2:3], v7, v1, 0
	v_add_co_u32_e32 v1, vcc, v8, v12
	v_mad_u64_u32 v[10:11], s[2:3], v7, v5, 0
	s_nop 0
	v_addc_co_u32_e32 v8, vcc, v9, v13, vcc
	v_mov_b32_e32 v9, v4
	s_nop 0
	v_addc_co_u32_e32 v11, vcc, 0, v11, vcc
	v_lshl_add_u64 v[8:9], v[8:9], 0, v[10:11]
	v_mul_lo_u32 v1, s19, v8
	v_mul_lo_u32 v5, s18, v9
	v_mad_u64_u32 v[10:11], s[2:3], s18, v8, 0
	v_add3_u32 v1, v11, v5, v1
	v_sub_u32_e32 v5, v7, v1
	v_mov_b32_e32 v11, s19
	v_sub_co_u32_e32 v14, vcc, v6, v10
	v_lshl_add_u64 v[12:13], v[8:9], 0, 1
	s_nop 0
	v_subb_co_u32_e64 v5, s[2:3], v5, v11, vcc
	v_subrev_co_u32_e64 v10, s[2:3], s18, v14
	v_subb_co_u32_e32 v1, vcc, v7, v1, vcc
	s_nop 0
	v_subbrev_co_u32_e64 v5, s[2:3], 0, v5, s[2:3]
	v_cmp_le_u32_e64 s[2:3], s19, v5
	v_cmp_le_u32_e32 vcc, s19, v1
	s_nop 0
	v_cndmask_b32_e64 v11, 0, -1, s[2:3]
	v_cmp_le_u32_e64 s[2:3], s18, v10
	s_nop 1
	v_cndmask_b32_e64 v10, 0, -1, s[2:3]
	v_cmp_eq_u32_e64 s[2:3], s19, v5
	s_nop 1
	v_cndmask_b32_e64 v5, v11, v10, s[2:3]
	v_lshl_add_u64 v[10:11], v[8:9], 0, 2
	v_cmp_ne_u32_e64 s[2:3], 0, v5
	s_nop 1
	v_cndmask_b32_e64 v5, v13, v11, s[2:3]
	v_cndmask_b32_e64 v11, 0, -1, vcc
	v_cmp_le_u32_e32 vcc, s18, v14
	s_nop 1
	v_cndmask_b32_e64 v13, 0, -1, vcc
	v_cmp_eq_u32_e32 vcc, s19, v1
	s_nop 1
	v_cndmask_b32_e32 v1, v11, v13, vcc
	v_cmp_ne_u32_e32 vcc, 0, v1
	v_cndmask_b32_e64 v1, v12, v10, s[2:3]
	s_nop 0
	v_cndmask_b32_e32 v9, v9, v5, vcc
	v_cndmask_b32_e32 v8, v8, v1, vcc
.LBB0_4:                                ;   in Loop: Header=BB0_2 Depth=1
	s_andn2_saveexec_b64 s[2:3], s[20:21]
	s_cbranch_execz .LBB0_6
; %bb.5:                                ;   in Loop: Header=BB0_2 Depth=1
	v_cvt_f32_u32_e32 v1, s18
	s_sub_i32 s20, 0, s18
	v_rcp_iflag_f32_e32 v1, v1
	s_nop 0
	v_mul_f32_e32 v1, 0x4f7ffffe, v1
	v_cvt_u32_f32_e32 v1, v1
	v_mul_lo_u32 v5, s20, v1
	v_mul_hi_u32 v5, v1, v5
	v_add_u32_e32 v1, v1, v5
	v_mul_hi_u32 v1, v6, v1
	v_mul_lo_u32 v5, v1, s18
	v_sub_u32_e32 v5, v6, v5
	v_add_u32_e32 v8, 1, v1
	v_subrev_u32_e32 v9, s18, v5
	v_cmp_le_u32_e32 vcc, s18, v5
	s_nop 1
	v_cndmask_b32_e32 v5, v5, v9, vcc
	v_cndmask_b32_e32 v1, v1, v8, vcc
	v_add_u32_e32 v8, 1, v1
	v_cmp_le_u32_e32 vcc, s18, v5
	v_mov_b32_e32 v9, v4
	s_nop 0
	v_cndmask_b32_e32 v8, v1, v8, vcc
.LBB0_6:                                ;   in Loop: Header=BB0_2 Depth=1
	s_or_b64 exec, exec, s[2:3]
	v_mad_u64_u32 v[10:11], s[2:3], v8, s18, 0
	s_load_dwordx2 s[2:3], s[12:13], 0x0
	v_mul_lo_u32 v1, v9, s18
	v_mul_lo_u32 v5, v8, s19
	v_add3_u32 v1, v11, v5, v1
	v_sub_co_u32_e32 v5, vcc, v6, v10
	s_add_u32 s14, s14, 1
	s_nop 0
	v_subb_co_u32_e32 v1, vcc, v7, v1, vcc
	s_addc_u32 s15, s15, 0
	s_waitcnt lgkmcnt(0)
	v_mul_lo_u32 v1, s2, v1
	v_mul_lo_u32 v6, s3, v5
	v_mad_u64_u32 v[2:3], s[2:3], s2, v5, v[2:3]
	s_add_u32 s12, s12, 8
	v_add3_u32 v3, v6, v3, v1
	s_addc_u32 s13, s13, 0
	v_mov_b64_e32 v[6:7], s[6:7]
	s_add_u32 s16, s16, 8
	v_cmp_ge_u64_e32 vcc, s[14:15], v[6:7]
	s_addc_u32 s17, s17, 0
	s_cbranch_vccnz .LBB0_9
; %bb.7:                                ;   in Loop: Header=BB0_2 Depth=1
	v_mov_b64_e32 v[6:7], v[8:9]
	s_branch .LBB0_2
.LBB0_8:
	v_mov_b64_e32 v[8:9], v[6:7]
.LBB0_9:
	s_lshl_b64 s[2:3], s[6:7], 3
	s_add_u32 s2, s10, s2
	s_addc_u32 s3, s11, s3
	s_load_dwordx2 s[6:7], s[2:3], 0x0
	s_load_dwordx2 s[10:11], s[0:1], 0x20
	s_mov_b32 s2, 0x4444445
	s_waitcnt lgkmcnt(0)
	v_mul_lo_u32 v1, s6, v9
	v_mul_lo_u32 v4, s7, v8
	v_mad_u64_u32 v[2:3], s[0:1], s6, v8, v[2:3]
	v_add3_u32 v3, v4, v3, v1
	v_mul_hi_u32 v1, v0, s2
	v_mul_u32_u24_e32 v1, 60, v1
	v_sub_u32_e32 v16, v0, v1
	v_cmp_gt_u64_e64 s[0:1], s[10:11], v[8:9]
	v_cmp_le_u64_e32 vcc, s[10:11], v[8:9]
	v_add_u32_e32 v20, 60, v16
	s_and_saveexec_b64 s[2:3], vcc
	s_xor_b64 s[2:3], exec, s[2:3]
; %bb.10:
	v_add_u32_e32 v20, 60, v16
; %bb.11:
	s_or_saveexec_b64 s[2:3], s[2:3]
	v_lshl_add_u64 v[18:19], v[2:3], 3, s[8:9]
	v_lshl_add_u32 v30, v16, 3, 0
	s_xor_b64 exec, exec, s[2:3]
	s_cbranch_execz .LBB0_13
; %bb.12:
	v_mov_b32_e32 v17, 0
	v_lshl_add_u64 v[0:1], v[16:17], 3, v[18:19]
	global_load_dwordx2 v[2:3], v[0:1], off
	global_load_dwordx2 v[4:5], v[0:1], off offset:480
	global_load_dwordx2 v[6:7], v[0:1], off offset:960
	;; [unrolled: 1-line block ×7, first 2 shown]
	v_add_co_u32_e32 v24, vcc, 0x1000, v0
	s_nop 1
	v_addc_co_u32_e32 v25, vcc, 0, v1, vcc
	global_load_dwordx2 v[26:27], v[0:1], off offset:3840
	global_load_dwordx2 v[28:29], v[24:25], off offset:224
	v_add_u32_e32 v0, 0x400, v30
	v_add_u32_e32 v1, 0x800, v30
	s_waitcnt vmcnt(8)
	ds_write2_b64 v30, v[2:3], v[4:5] offset1:60
	s_waitcnt vmcnt(6)
	ds_write2_b64 v30, v[6:7], v[8:9] offset0:120 offset1:180
	s_waitcnt vmcnt(4)
	ds_write2_b64 v0, v[10:11], v[12:13] offset0:112 offset1:172
	;; [unrolled: 2-line block ×3, first 2 shown]
	v_add_u32_e32 v0, 0xc00, v30
	s_waitcnt vmcnt(0)
	ds_write2_b64 v0, v[26:27], v[28:29] offset0:96 offset1:156
.LBB0_13:
	s_or_b64 exec, exec, s[2:3]
	v_add_u32_e32 v3, 0x400, v30
	v_add_u32_e32 v0, 0x800, v30
	;; [unrolled: 1-line block ×3, first 2 shown]
	s_waitcnt lgkmcnt(0)
	; wave barrier
	s_waitcnt lgkmcnt(0)
	ds_read2_b64 v[4:7], v30 offset1:60
	ds_read2_b64 v[8:11], v30 offset0:120 offset1:180
	ds_read2_b64 v[12:15], v3 offset0:112 offset1:172
	;; [unrolled: 1-line block ×4, first 2 shown]
	s_mov_b32 s10, 0x3f737871
	s_mov_b32 s6, 0x3f167918
	s_waitcnt lgkmcnt(2)
	v_mov_b32_e32 v46, v12
	s_waitcnt lgkmcnt(1)
	v_pk_add_f32 v[32:33], v[12:13], v[22:23]
	s_waitcnt lgkmcnt(0)
	v_pk_add_f32 v[34:35], v[8:9], v[26:27] neg_lo:[0,1] neg_hi:[0,1]
	v_pk_fma_f32 v[32:33], v[32:33], 0.5, v[4:5] op_sel_hi:[1,0,1] neg_lo:[1,0,0] neg_hi:[1,0,0]
	v_pk_mul_f32 v[36:37], v[34:35], s[10:11] op_sel_hi:[1,0]
	v_pk_add_f32 v[38:39], v[12:13], v[22:23] neg_lo:[0,1] neg_hi:[0,1]
	v_mov_b32_e32 v47, v22
	v_mov_b32_e32 v48, v8
	;; [unrolled: 1-line block ×3, first 2 shown]
	v_pk_mul_f32 v[40:41], v[38:39], s[6:7] op_sel_hi:[1,0]
	v_pk_add_f32 v[42:43], v[8:9], v[12:13] neg_lo:[0,1] neg_hi:[0,1]
	v_pk_add_f32 v[44:45], v[26:27], v[22:23] neg_lo:[0,1] neg_hi:[0,1]
	;; [unrolled: 1-line block ×3, first 2 shown]
	v_pk_add_f32 v[48:49], v[32:33], v[36:37] op_sel:[0,1] op_sel_hi:[1,0] neg_lo:[0,1] neg_hi:[0,1]
	v_pk_add_f32 v[42:43], v[42:43], v[44:45]
	v_pk_add_f32 v[44:45], v[8:9], v[26:27]
	v_pk_add_f32 v[32:33], v[32:33], v[36:37] op_sel:[0,1] op_sel_hi:[1,0]
	v_pk_add_f32 v[36:37], v[48:49], v[40:41] op_sel:[0,1] op_sel_hi:[1,0] neg_lo:[0,1] neg_hi:[0,1]
	v_sub_f32_e32 v48, v13, v9
	v_mov_b32_e32 v52, v14
	v_mov_b32_e32 v53, v24
	;; [unrolled: 1-line block ×4, first 2 shown]
	v_pk_add_f32 v[8:9], v[4:5], v[8:9]
	v_pk_add_f32 v[52:53], v[52:53], v[54:55] neg_lo:[0,1] neg_hi:[0,1]
	v_pk_add_f32 v[54:55], v[6:7], v[10:11]
	v_mov_b32_e32 v58, v15
	v_mov_b32_e32 v59, v25
	;; [unrolled: 1-line block ×4, first 2 shown]
	v_pk_add_f32 v[8:9], v[8:9], v[12:13]
	v_mov_b32_e32 v2, v47
	v_pk_add_f32 v[50:51], v[10:11], v[28:29]
	v_pk_add_f32 v[54:55], v[54:55], v[14:15]
	v_pk_add_f32 v[56:57], v[10:11], v[28:29] neg_lo:[0,1] neg_hi:[0,1]
	v_pk_add_f32 v[58:59], v[58:59], v[60:61] neg_lo:[0,1] neg_hi:[0,1]
	v_pk_add_f32 v[60:61], v[14:15], v[24:25]
	v_pk_add_f32 v[8:9], v[8:9], v[22:23]
	;; [unrolled: 1-line block ×3, first 2 shown]
	v_pk_add_f32 v[10:11], v[10:11], v[14:15] neg_lo:[0,1] neg_hi:[0,1]
	v_pk_add_f32 v[12:13], v[14:15], v[24:25] neg_lo:[0,1] neg_hi:[0,1]
	;; [unrolled: 1-line block ×3, first 2 shown]
	v_pk_add_f32 v[54:55], v[54:55], v[24:25]
	v_pk_add_f32 v[22:23], v[28:29], v[24:25] neg_lo:[0,1] neg_hi:[0,1]
	v_fma_f32 v25, -0.5, v50, v6
	v_fma_f32 v51, -0.5, v51, v7
	v_pk_add_f32 v[8:9], v[8:9], v[26:27]
	v_pk_fma_f32 v[6:7], v[60:61], 0.5, v[6:7] op_sel_hi:[1,0,1] neg_lo:[1,0,0] neg_hi:[1,0,0]
	v_pk_mul_f32 v[26:27], v[56:57], s[10:11] op_sel_hi:[1,0]
	s_mov_b32 s8, 0x3e9e377a
	v_fma_f32 v17, -0.5, v44, v4
	v_mov_b32_e32 v47, v35
	s_mov_b32 s9, s6
	v_pk_add_f32 v[28:29], v[54:55], v[28:29]
	v_pk_add_f32 v[54:55], v[6:7], v[26:27] op_sel:[0,1] op_sel_hi:[1,0]
	v_pk_add_f32 v[10:11], v[10:11], v[22:23]
	v_pk_mul_f32 v[22:23], v[12:13], s[6:7] op_sel_hi:[1,0]
	v_pk_add_f32 v[6:7], v[6:7], v[26:27] op_sel:[0,1] op_sel_hi:[1,0] neg_lo:[0,1] neg_hi:[0,1]
	v_fmamk_f32 v21, v39, 0x3f737871, v17
	v_pk_mul_f32 v[46:47], v[46:47], s[8:9]
	v_pk_add_f32 v[54:55], v[22:23], v[54:55] op_sel:[1,0] op_sel_hi:[0,1]
	v_pk_add_f32 v[6:7], v[6:7], v[22:23] op_sel:[0,1] op_sel_hi:[1,0] neg_lo:[0,1] neg_hi:[0,1]
	v_mov_b32_e32 v22, v57
	v_mov_b32_e32 v23, v13
	s_mov_b32 s7, s10
	v_sub_f32_e32 v2, v21, v47
	v_fmac_f32_e32 v17, 0xbf737871, v39
	v_pk_mul_f32 v[22:23], v[22:23], s[6:7]
	v_add_f32_e32 v44, v46, v2
	v_add_f32_e32 v2, v47, v17
	v_pk_fma_f32 v[26:27], v[10:11], s[8:9], v[54:55] op_sel_hi:[1,0,1]
	v_mov_b32_e32 v24, v53
	v_mov_b32_e32 v53, v23
	;; [unrolled: 1-line block ×3, first 2 shown]
	v_add_f32_e32 v46, v46, v2
	v_pk_add_f32 v[52:53], v[52:53], v[24:25]
	v_sub_f32_e32 v2, v25, v23
	v_pk_fma_f32 v[24:25], v[10:11], s[8:9], v[54:55] op_sel_hi:[1,0,1]
	v_mov_b32_e32 v17, v58
	v_pk_fma_f32 v[6:7], v[10:11], s[8:9], v[6:7] op_sel_hi:[1,0,1]
	v_pk_mul_f32 v[10:11], v[24:25], s[6:7] op_sel_hi:[1,0]
	s_mov_b32 s2, 0x3f4f1bbd
	v_pk_add_f32 v[58:59], v[16:17], v[58:59]
	v_fmamk_f32 v17, v12, 0xbf737871, v51
	v_fmac_f32_e32 v51, 0x3f737871, v12
	v_pk_fma_f32 v[12:13], v[24:25], s[2:3], v[10:11] op_sel:[0,0,1] op_sel_hi:[1,0,0] neg_lo:[0,0,1] neg_hi:[0,0,1]
	v_pk_fma_f32 v[10:11], v[24:25], s[2:3], v[10:11] op_sel:[0,0,1] op_sel_hi:[1,0,0]
	v_mov_b32_e32 v25, 0x3e9e377a
	s_movk_i32 s2, 0x48
	v_add_f32_e32 v49, v22, v2
	v_mov_b32_e32 v23, v22
	v_mov_b32_e32 v22, v25
	v_mad_u32_u24 v21, v16, s2, v30
	v_pk_add_f32 v[22:23], v[52:53], v[22:23] neg_lo:[0,1] neg_hi:[0,1]
	v_mov_b32_e32 v54, v45
	v_mov_b32_e32 v55, v56
	s_mov_b32 s2, 0.5
	s_mov_b32 s3, s6
	v_mov_b32_e32 v2, v23
	v_mov_b32_e32 v39, v59
	v_pk_mul_f32 v[56:57], v[54:55], s[2:3]
	s_mov_b32 s11, s8
	v_pk_add_f32 v[32:33], v[32:33], v[40:41] op_sel:[0,1] op_sel_hi:[1,0]
	v_pk_fma_f32 v[22:23], v[52:53], s[8:9], v[2:3]
	v_pk_mul_f32 v[52:53], v[52:53], s[8:9]
	v_mov_b32_e32 v50, v5
	v_pk_mul_f32 v[4:5], v[38:39], s[10:11]
	v_add_f32_e32 v17, v57, v17
	v_mov_b32_e32 v40, v36
	v_mov_b32_e32 v41, v33
	v_pk_fma_f32 v[50:51], v[54:55], s[2:3], v[50:51] neg_lo:[1,0,0] neg_hi:[1,0,0]
	v_mov_b32_e32 v14, v15
	v_mov_b32_e32 v15, v52
	v_add_f32_e32 v5, v5, v17
	v_pk_fma_f32 v[40:41], v[42:43], s[8:9], v[40:41] op_sel_hi:[1,0,1]
	v_mul_f32_e32 v24, 0x3f167918, v34
	s_mov_b32 s7, s8
	v_sub_f32_e32 v4, v50, v4
	v_pk_add_f32 v[14:15], v[48:49], v[14:15]
	s_mov_b32 s9, s10
	v_pk_fma_f32 v[38:39], v[38:39], s[10:11], v[50:51]
	v_mul_f32_e32 v48, 0xbf737871, v5
	v_mul_f32_e32 v2, 0x3f737871, v22
	v_fmac_f32_e32 v4, 0x3f167918, v34
	v_pk_mul_f32 v[34:35], v[14:15], s[8:9]
	v_fmac_f32_e32 v48, 0x3e9e377a, v22
	v_pk_add_f32 v[22:23], v[38:39], v[24:25] neg_lo:[0,1] neg_hi:[0,1]
	v_pk_mul_f32 v[24:25], v[38:39], s[6:7]
	v_mul_f32_e32 v17, 0xbf737871, v39
	v_mul_f32_e32 v5, 0x3e9e377a, v5
	v_mov_b32_e32 v35, v2
	v_mov_b32_e32 v24, v22
	;; [unrolled: 1-line block ×3, first 2 shown]
	v_fmamk_f32 v50, v15, 0xbe9e377a, v17
	v_pk_add_f32 v[4:5], v[34:35], v[4:5]
	v_pk_fma_f32 v[34:35], v[14:15], s[8:9], v[22:23]
	v_pk_fma_f32 v[14:15], v[14:15], s[8:9], v[24:25] neg_lo:[0,0,1] neg_hi:[0,0,1]
	v_pk_add_f32 v[10:11], v[8:9], v[28:29]
	v_pk_add_f32 v[22:23], v[40:41], v[12:13] neg_lo:[0,1] neg_hi:[0,1]
	v_pk_add_f32 v[12:13], v[40:41], v[12:13]
	v_mov_b32_e32 v45, v4
	v_mov_b32_e32 v49, v5
	;; [unrolled: 1-line block ×4, first 2 shown]
	s_waitcnt lgkmcnt(0)
	; wave barrier
	ds_write2_b64 v21, v[10:11], v[12:13] offset1:1
	v_pk_add_f32 v[4:5], v[44:45], v[48:49]
	v_pk_add_f32 v[10:11], v[46:47], v[50:51]
	v_mov_b32_e32 v33, v37
	ds_write2_b64 v21, v[4:5], v[10:11] offset0:2 offset1:3
	v_pk_fma_f32 v[4:5], v[42:43], s[8:9], v[32:33] op_sel_hi:[1,0,1]
	s_mov_b32 s8, 0xbf4f1bbd
	s_mov_b32 s9, s6
	s_mov_b32 s6, 0xbf167918
	s_mov_b32 s7, s8
	v_pk_mul_f32 v[6:7], v[6:7], s[6:7] op_sel:[1,0]
	v_pk_add_f32 v[8:9], v[8:9], v[28:29] neg_lo:[0,1] neg_hi:[0,1]
	v_pk_fma_f32 v[6:7], v[26:27], s[8:9], v[6:7] op_sel_hi:[0,1,1]
	v_pk_add_f32 v[10:11], v[4:5], v[6:7]
	v_pk_add_f32 v[26:27], v[44:45], v[48:49] neg_lo:[0,1] neg_hi:[0,1]
	v_pk_add_f32 v[28:29], v[46:47], v[50:51] neg_lo:[0,1] neg_hi:[0,1]
	;; [unrolled: 1-line block ×3, first 2 shown]
	ds_write2_b64 v21, v[10:11], v[8:9] offset0:4 offset1:5
	ds_write2_b64 v21, v[22:23], v[26:27] offset0:6 offset1:7
	ds_write2_b64 v21, v[28:29], v[24:25] offset0:8 offset1:9
	s_waitcnt lgkmcnt(0)
	; wave barrier
	s_waitcnt lgkmcnt(0)
	ds_read2_b64 v[4:7], v30 offset1:100
	ds_read2_b64 v[12:15], v3 offset0:72 offset1:172
	ds_read2_b64 v[8:11], v0 offset0:144 offset1:244
	s_mov_b32 s8, -0.5
	v_cmp_gt_u32_e32 vcc, 40, v16
	v_lshl_add_u32 v31, v20, 3, 0
                                        ; implicit-def: $vgpr2
	s_and_saveexec_b64 s[6:7], vcc
	s_cbranch_execz .LBB0_15
; %bb.14:
	ds_read2_b64 v[26:29], v3 offset0:32 offset1:132
	ds_read_b64 v[22:23], v31
	ds_read2_b32 v[24:25], v0 offset0:208 offset1:209
	ds_read2_b64 v[0:3], v1 offset0:76 offset1:176
.LBB0_15:
	s_or_b64 exec, exec, s[6:7]
	s_movk_i32 s10, 0xcd
	v_mul_lo_u16_sdwa v17, v16, s10 dst_sel:DWORD dst_unused:UNUSED_PAD src0_sel:BYTE_0 src1_sel:DWORD
	v_lshrrev_b16_e32 v42, 11, v17
	v_mul_lo_u16_e32 v17, 10, v42
	v_sub_u16_e32 v43, v16, v17
	v_mov_b32_e32 v21, 5
	v_mul_u32_u24_sdwa v17, v43, v21 dst_sel:DWORD dst_unused:UNUSED_PAD src0_sel:BYTE_0 src1_sel:DWORD
	v_lshlrev_b32_e32 v17, 3, v17
	global_load_dwordx4 v[32:35], v17, s[4:5]
	global_load_dwordx4 v[36:39], v17, s[4:5] offset:16
	global_load_dwordx2 v[40:41], v17, s[4:5] offset:32
	v_mov_b32_e32 v17, 3
	v_mul_u32_u24_e32 v42, 0x1e0, v42
	v_lshlrev_b32_sdwa v43, v17, v43 dst_sel:DWORD dst_unused:UNUSED_PAD src0_sel:DWORD src1_sel:BYTE_0
	v_add3_u32 v54, 0, v42, v43
	s_mov_b32 s6, 0x3f5db3d7
	s_mov_b32 s3, s6
	;; [unrolled: 1-line block ×3, first 2 shown]
	s_waitcnt lgkmcnt(0)
	; wave barrier
	s_waitcnt vmcnt(2) lgkmcnt(0)
	v_pk_mul_f32 v[42:43], v[32:33], v[6:7] op_sel:[0,1]
	v_pk_mul_f32 v[44:45], v[34:35], v[12:13] op_sel:[0,1]
	s_waitcnt vmcnt(1)
	v_pk_mul_f32 v[46:47], v[36:37], v[14:15] op_sel:[0,1]
	v_pk_mul_f32 v[48:49], v[38:39], v[8:9] op_sel:[0,1]
	s_waitcnt vmcnt(0)
	v_pk_mul_f32 v[50:51], v[40:41], v[10:11] op_sel:[0,1]
	v_pk_fma_f32 v[52:53], v[32:33], v[6:7], v[42:43] op_sel:[0,0,1] op_sel_hi:[1,0,0]
	v_pk_fma_f32 v[6:7], v[32:33], v[6:7], v[42:43] op_sel:[0,0,1] op_sel_hi:[1,0,0] neg_lo:[1,0,0] neg_hi:[1,0,0]
	v_pk_fma_f32 v[32:33], v[34:35], v[12:13], v[44:45] op_sel:[0,0,1] op_sel_hi:[1,1,0]
	v_pk_fma_f32 v[12:13], v[34:35], v[12:13], v[44:45] op_sel:[0,0,1] op_sel_hi:[1,0,0] neg_lo:[1,0,0] neg_hi:[1,0,0]
	;; [unrolled: 2-line block ×5, first 2 shown]
	v_mov_b32_e32 v35, v15
	v_mov_b32_e32 v39, v11
	;; [unrolled: 1-line block ×5, first 2 shown]
	v_pk_add_f32 v[10:11], v[34:35], v[38:39]
	v_mov_b32_e32 v6, v52
	v_pk_add_f32 v[8:9], v[4:5], v[32:33]
	v_pk_add_f32 v[12:13], v[34:35], v[38:39] neg_lo:[0,1] neg_hi:[0,1]
	v_pk_add_f32 v[14:15], v[52:53], v[34:35]
	v_pk_add_f32 v[34:35], v[32:33], v[36:37]
	v_pk_add_f32 v[32:33], v[32:33], v[36:37] neg_lo:[0,1] neg_hi:[0,1]
	v_fmac_f32_e32 v7, -0.5, v11
	v_pk_add_f32 v[8:9], v[8:9], v[36:37]
	v_fmac_f32_e32 v6, -0.5, v10
	v_pk_add_f32 v[14:15], v[14:15], v[38:39]
	v_pk_fma_f32 v[4:5], -0.5, v[34:35], v[4:5] op_sel_hi:[0,1,1]
	v_pk_mul_f32 v[10:11], v[32:33], s[6:7] op_sel_hi:[1,0]
	s_mov_b32 s7, s2
	v_fmamk_f32 v34, v12, 0x3f5db3d7, v7
	v_fmamk_f32 v32, v13, 0xbf5db3d7, v6
	v_fmac_f32_e32 v6, 0x3f5db3d7, v13
	v_fmac_f32_e32 v7, 0xbf5db3d7, v12
	v_pk_add_f32 v[12:13], v[8:9], v[14:15]
	v_pk_add_f32 v[36:37], v[4:5], v[10:11] op_sel:[0,1] op_sel_hi:[1,0] neg_lo:[0,1] neg_hi:[0,1]
	v_pk_add_f32 v[4:5], v[4:5], v[10:11] op_sel:[0,1] op_sel_hi:[1,0]
	v_pk_add_f32 v[8:9], v[8:9], v[14:15] neg_lo:[0,1] neg_hi:[0,1]
	v_pk_mul_f32 v[14:15], v[34:35], s[6:7] op_sel_hi:[0,1]
	v_mov_b32_e32 v10, v36
	v_mov_b32_e32 v11, v5
	;; [unrolled: 1-line block ×4, first 2 shown]
	v_pk_fma_f32 v[36:37], v[32:33], s[2:3], v[14:15] neg_lo:[0,0,1] neg_hi:[0,0,1]
	v_pk_fma_f32 v[14:15], v[32:33], s[2:3], v[14:15] op_sel_hi:[0,1,1]
	v_pk_mul_f32 v[32:33], v[34:35], s[6:7] op_sel_hi:[0,1]
	v_mov_b32_e32 v37, v15
	v_pk_fma_f32 v[6:7], v[6:7], s[8:9], v[32:33] op_sel_hi:[0,1,1] neg_lo:[0,0,1] neg_hi:[0,0,1]
	v_pk_add_f32 v[14:15], v[10:11], v[36:37]
	v_pk_add_f32 v[32:33], v[4:5], v[6:7]
	v_pk_add_f32 v[10:11], v[10:11], v[36:37] neg_lo:[0,1] neg_hi:[0,1]
	v_pk_add_f32 v[4:5], v[4:5], v[6:7] neg_lo:[0,1] neg_hi:[0,1]
	ds_write2_b64 v54, v[12:13], v[14:15] offset1:10
	ds_write2_b64 v54, v[32:33], v[8:9] offset0:20 offset1:30
	ds_write2_b64 v54, v[10:11], v[4:5] offset0:40 offset1:50
	s_and_saveexec_b64 s[2:3], vcc
	s_cbranch_execz .LBB0_17
; %bb.16:
	v_mul_lo_u16_sdwa v4, v20, s10 dst_sel:DWORD dst_unused:UNUSED_PAD src0_sel:BYTE_0 src1_sel:DWORD
	v_lshrrev_b16_e32 v15, 11, v4
	v_mul_lo_u16_e32 v4, 10, v15
	v_sub_u16_e32 v33, v20, v4
	v_mul_u32_u24_sdwa v4, v33, v21 dst_sel:DWORD dst_unused:UNUSED_PAD src0_sel:BYTE_0 src1_sel:DWORD
	v_lshlrev_b32_e32 v14, 3, v4
	global_load_dwordx4 v[4:7], v14, s[4:5]
	global_load_dwordx4 v[8:11], v14, s[4:5] offset:16
	global_load_dwordx2 v[12:13], v14, s[4:5] offset:32
	v_mov_b32_e32 v14, v29
	v_mov_b32_e32 v32, v1
	;; [unrolled: 1-line block ×5, first 2 shown]
	v_mul_u32_u24_e32 v1, 0x1e0, v15
	v_lshlrev_b32_sdwa v3, v17, v33 dst_sel:DWORD dst_unused:UNUSED_PAD src0_sel:DWORD src1_sel:BYTE_0
	v_add3_u32 v17, 0, v1, v3
	s_mov_b32 s10, 0.5
	s_mov_b32 s11, s6
	s_mov_b32 s9, s6
	s_waitcnt vmcnt(2)
	v_pk_mul_f32 v[14:15], v[14:15], v[6:7] op_sel_hi:[0,1]
	s_waitcnt vmcnt(1)
	v_pk_mul_f32 v[32:33], v[32:33], v[10:11] op_sel_hi:[0,1]
	v_pk_mul_f32 v[36:37], v[36:37], v[8:9] op_sel_hi:[0,1]
	s_waitcnt vmcnt(0)
	v_pk_mul_f32 v[38:39], v[38:39], v[12:13] op_sel_hi:[0,1]
	v_pk_mul_f32 v[34:35], v[34:35], v[4:5] op_sel_hi:[0,1]
	v_pk_fma_f32 v[40:41], v[28:29], v[6:7], v[14:15] op_sel:[0,0,1] op_sel_hi:[1,1,0]
	v_pk_fma_f32 v[6:7], v[28:29], v[6:7], v[14:15] op_sel:[0,0,1] op_sel_hi:[0,1,0] neg_lo:[1,0,0] neg_hi:[1,0,0]
	v_pk_fma_f32 v[14:15], v[0:1], v[10:11], v[32:33] op_sel:[0,0,1] op_sel_hi:[1,1,0]
	v_pk_fma_f32 v[0:1], v[0:1], v[10:11], v[32:33] op_sel:[0,0,1] op_sel_hi:[0,1,0] neg_lo:[1,0,0] neg_hi:[1,0,0]
	v_pk_fma_f32 v[10:11], v[24:25], v[8:9], v[36:37] op_sel:[0,0,1] op_sel_hi:[1,1,0]
	v_pk_fma_f32 v[8:9], v[24:25], v[8:9], v[36:37] op_sel:[0,0,1] op_sel_hi:[0,1,0] neg_lo:[1,0,0] neg_hi:[1,0,0]
	v_pk_fma_f32 v[24:25], v[2:3], v[12:13], v[38:39] op_sel:[0,0,1] op_sel_hi:[1,1,0]
	v_pk_fma_f32 v[2:3], v[2:3], v[12:13], v[38:39] op_sel:[0,0,1] op_sel_hi:[0,1,0] neg_lo:[1,0,0] neg_hi:[1,0,0]
	v_pk_fma_f32 v[12:13], v[26:27], v[4:5], v[34:35] op_sel:[0,0,1] op_sel_hi:[0,1,0]
	v_pk_fma_f32 v[4:5], v[26:27], v[4:5], v[34:35] op_sel:[0,0,1] op_sel_hi:[0,1,0] neg_lo:[1,0,0] neg_hi:[1,0,0]
	v_mov_b32_e32 v11, v9
	v_mov_b32_e32 v25, v3
	;; [unrolled: 1-line block ×5, first 2 shown]
	v_pk_add_f32 v[2:3], v[10:11], v[24:25]
	v_mov_b32_e32 v0, v12
	v_pk_add_f32 v[6:7], v[10:11], v[24:25] neg_lo:[0,1] neg_hi:[0,1]
	v_pk_add_f32 v[8:9], v[22:23], v[40:41]
	v_pk_add_f32 v[10:11], v[12:13], v[10:11]
	v_pk_add_f32 v[12:13], v[40:41], v[14:15]
	v_pk_add_f32 v[26:27], v[40:41], v[14:15] neg_lo:[0,1] neg_hi:[0,1]
	v_fmac_f32_e32 v5, -0.5, v3
	v_fmac_f32_e32 v0, -0.5, v2
	v_pk_add_f32 v[2:3], v[8:9], v[14:15]
	v_pk_add_f32 v[8:9], v[10:11], v[24:25]
	v_pk_fma_f32 v[10:11], -0.5, v[12:13], v[22:23] op_sel_hi:[0,1,1]
	v_pk_mul_f32 v[12:13], v[26:27], s[6:7] op_sel_hi:[1,0]
	v_fmamk_f32 v14, v6, 0xbf5db3d7, v5
	v_fmac_f32_e32 v5, 0x3f5db3d7, v6
	s_mov_b32 s7, s10
	v_pk_add_f32 v[22:23], v[10:11], v[12:13] op_sel:[0,1] op_sel_hi:[1,0] neg_lo:[0,1] neg_hi:[0,1]
	v_pk_add_f32 v[10:11], v[10:11], v[12:13] op_sel:[0,1] op_sel_hi:[1,0]
	v_mov_b32_e32 v12, v5
	v_fmamk_f32 v4, v7, 0x3f5db3d7, v0
	v_fmac_f32_e32 v0, 0xbf5db3d7, v7
	v_pk_mul_f32 v[14:15], v[14:15], s[6:7] op_sel_hi:[0,1]
	v_pk_mul_f32 v[12:13], v[12:13], s[6:7] op_sel_hi:[0,1]
	v_pk_fma_f32 v[4:5], v[4:5], s[8:9], v[14:15] op_sel_hi:[0,1,1] neg_lo:[0,0,1] neg_hi:[0,0,1]
	v_pk_fma_f32 v[14:15], v[0:1], s[10:11], v[12:13] neg_lo:[0,0,1] neg_hi:[0,0,1]
	v_pk_fma_f32 v[0:1], v[0:1], s[10:11], v[12:13] op_sel_hi:[0,1,1]
	v_pk_add_f32 v[6:7], v[2:3], v[8:9]
	v_pk_add_f32 v[2:3], v[2:3], v[8:9] neg_lo:[0,1] neg_hi:[0,1]
	v_mov_b32_e32 v8, v22
	v_mov_b32_e32 v9, v11
	;; [unrolled: 1-line block ×4, first 2 shown]
	v_pk_add_f32 v[12:13], v[10:11], v[4:5]
	v_pk_add_f32 v[0:1], v[8:9], v[14:15]
	v_pk_add_f32 v[4:5], v[10:11], v[4:5] neg_lo:[0,1] neg_hi:[0,1]
	ds_write2_b64 v17, v[12:13], v[2:3] offset0:20 offset1:30
	v_pk_add_f32 v[2:3], v[8:9], v[14:15] neg_lo:[0,1] neg_hi:[0,1]
	ds_write2_b64 v17, v[6:7], v[0:1] offset1:10
	ds_write2_b64 v17, v[2:3], v[4:5] offset0:40 offset1:50
.LBB0_17:
	s_or_b64 exec, exec, s[2:3]
	v_mul_u32_u24_e32 v0, 9, v16
	v_lshlrev_b32_e32 v17, 3, v0
	s_waitcnt lgkmcnt(0)
	; wave barrier
	s_waitcnt lgkmcnt(0)
	global_load_dwordx4 v[0:3], v17, s[4:5] offset:400
	global_load_dwordx4 v[4:7], v17, s[4:5] offset:416
	;; [unrolled: 1-line block ×4, first 2 shown]
	global_load_dwordx2 v[40:41], v17, s[4:5] offset:464
	ds_read2_b64 v[22:25], v30 offset1:120
	ds_read2_b64 v[26:29], v30 offset0:180 offset1:240
	v_add_u32_e32 v17, 0x800, v30
	ds_read_b64 v[42:43], v31
	ds_read_b64 v[44:45], v30 offset:4320
	ds_read2_b64 v[32:35], v17 offset0:44 offset1:104
	ds_read2_b64 v[36:39], v17 offset0:164 offset1:224
	s_mov_b32 s2, 0x3e9e377a
	s_mov_b32 s3, 0x3f167918
	;; [unrolled: 1-line block ×8, first 2 shown]
	s_waitcnt lgkmcnt(0)
	; wave barrier
	s_waitcnt lgkmcnt(0)
	v_cmp_ne_u32_e32 vcc, 0, v16
	s_waitcnt vmcnt(4)
	v_pk_mul_f32 v[46:47], v[0:1], v[42:43] op_sel:[0,1]
	s_waitcnt vmcnt(3)
	v_pk_mul_f32 v[50:51], v[4:5], v[26:27] op_sel:[0,1]
	v_pk_mul_f32 v[52:53], v[6:7], v[28:29] op_sel:[0,1]
	v_pk_fma_f32 v[58:59], v[4:5], v[26:27], v[50:51] op_sel:[0,0,1] op_sel_hi:[1,1,0]
	v_pk_fma_f32 v[4:5], v[4:5], v[26:27], v[50:51] op_sel:[0,0,1] op_sel_hi:[1,0,0] neg_lo:[1,0,0] neg_hi:[1,0,0]
	v_pk_mul_f32 v[48:49], v[2:3], v[24:25] op_sel:[0,1]
	s_waitcnt vmcnt(2)
	v_pk_mul_f32 v[54:55], v[8:9], v[32:33] op_sel:[0,1]
	v_mov_b32_e32 v56, v11
	v_pk_fma_f32 v[26:27], v[6:7], v[28:29], v[52:53] op_sel:[0,0,1] op_sel_hi:[1,1,0]
	v_pk_fma_f32 v[6:7], v[6:7], v[28:29], v[52:53] op_sel:[0,0,1] op_sel_hi:[1,0,0] neg_lo:[1,0,0] neg_hi:[1,0,0]
	s_waitcnt vmcnt(1)
	v_pk_mul_f32 v[28:29], v[36:37], v[12:13] op_sel:[0,1]
	v_mov_b32_e32 v4, v15
	s_waitcnt vmcnt(0)
	v_pk_mul_f32 v[50:51], v[44:45], v[40:41] op_sel:[0,1]
	v_pk_fma_f32 v[52:53], v[0:1], v[42:43], v[46:47] op_sel:[0,0,1] op_sel_hi:[1,0,0]
	v_pk_fma_f32 v[0:1], v[0:1], v[42:43], v[46:47] op_sel:[0,0,1] op_sel_hi:[1,0,0] neg_lo:[1,0,0] neg_hi:[1,0,0]
	v_pk_fma_f32 v[42:43], v[2:3], v[24:25], v[48:49] op_sel:[0,0,1] op_sel_hi:[1,1,0]
	v_pk_fma_f32 v[2:3], v[2:3], v[24:25], v[48:49] op_sel:[0,0,1] op_sel_hi:[1,0,0] neg_lo:[1,0,0] neg_hi:[1,0,0]
	;; [unrolled: 2-line block ×3, first 2 shown]
	v_pk_mul_f32 v[32:33], v[34:35], v[56:57] op_sel_hi:[1,0]
	v_pk_fma_f32 v[46:47], v[44:45], v[40:41], v[50:51] op_sel:[0,0,1] op_sel_hi:[1,1,0]
	v_pk_fma_f32 v[40:41], v[44:45], v[40:41], v[50:51] op_sel:[0,0,1] op_sel_hi:[1,0,0] neg_lo:[0,0,1] neg_hi:[0,0,1]
	v_pk_fma_f32 v[44:45], v[36:37], v[12:13], v[28:29] op_sel:[0,0,1] op_sel_hi:[1,1,0]
	v_pk_fma_f32 v[12:13], v[36:37], v[12:13], v[28:29] op_sel:[0,0,1] op_sel_hi:[1,0,0] neg_lo:[0,0,1] neg_hi:[0,0,1]
	v_pk_mul_f32 v[28:29], v[38:39], v[4:5] op_sel_hi:[1,0]
	v_mov_b32_e32 v43, v3
	v_mov_b32_e32 v27, v7
	v_pk_fma_f32 v[2:3], v[34:35], v[10:11], v[32:33] op_sel:[0,0,1] op_sel_hi:[1,1,0]
	v_pk_fma_f32 v[6:7], v[34:35], v[10:11], v[32:33] op_sel:[0,0,1] op_sel_hi:[1,0,0] neg_lo:[0,0,1] neg_hi:[0,0,1]
	v_pk_fma_f32 v[10:11], v[38:39], v[14:15], v[28:29] op_sel:[0,0,1] op_sel_hi:[1,1,0]
	v_pk_fma_f32 v[14:15], v[38:39], v[14:15], v[28:29] op_sel:[0,0,1] op_sel_hi:[1,0,0] neg_lo:[0,0,1] neg_hi:[0,0,1]
	v_mov_b32_e32 v28, v58
	v_mov_b32_e32 v29, v46
	;; [unrolled: 1-line block ×4, first 2 shown]
	v_pk_add_f32 v[38:39], v[28:29], v[32:33] neg_lo:[0,1] neg_hi:[0,1]
	v_pk_add_f32 v[28:29], v[32:33], v[28:29] neg_lo:[0,1] neg_hi:[0,1]
	v_mov_b32_e32 v59, v5
	v_mov_b32_e32 v25, v9
	;; [unrolled: 1-line block ×8, first 2 shown]
	v_pk_add_f32 v[14:15], v[24:25], v[44:45]
	v_pk_add_f32 v[34:35], v[58:59], v[46:47] neg_lo:[0,1] neg_hi:[0,1]
	v_pk_add_f32 v[36:37], v[24:25], v[44:45] neg_lo:[0,1] neg_hi:[0,1]
	v_pk_add_f32 v[48:49], v[58:59], v[46:47]
	v_pk_add_f32 v[32:33], v[38:39], v[0:1]
	;; [unrolled: 1-line block ×3, first 2 shown]
	v_fma_f32 v8, -0.5, v14, v52
	v_fmac_f32_e32 v12, -0.5, v48
	v_mov_b32_e32 v33, v37
	v_mov_b32_e32 v29, v35
	v_fmamk_f32 v14, v35, 0xbf737871, v8
	v_fmac_f32_e32 v8, 0x3f737871, v35
	v_fmamk_f32 v0, v37, 0x3f737871, v12
	v_fmac_f32_e32 v12, 0xbf737871, v37
	v_pk_mul_f32 v[32:33], v[32:33], s[2:3]
	v_pk_mul_f32 v[28:29], v[28:29], s[2:3]
	v_mov_b32_e32 v53, v1
	v_sub_f32_e32 v4, v14, v33
	v_add_f32_e32 v8, v33, v8
	v_sub_f32_e32 v14, v0, v29
	v_add_f32_e32 v12, v29, v12
	v_add_f32_e32 v0, v32, v4
	;; [unrolled: 1-line block ×5, first 2 shown]
	v_pk_add_f32 v[28:29], v[52:53], v[58:59]
	v_mov_b32_e32 v40, v5
	v_mov_b32_e32 v12, v9
	v_pk_add_f32 v[24:25], v[28:29], v[24:25]
	v_pk_add_f32 v[28:29], v[40:41], v[12:13] neg_lo:[0,1] neg_hi:[0,1]
	v_fma_f32 v15, -0.5, v15, v1
	v_mov_b32_e32 v32, v29
	v_pk_add_f32 v[28:29], v[28:29], v[32:33]
	v_pk_add_f32 v[12:13], v[12:13], v[40:41] neg_lo:[0,1] neg_hi:[0,1]
	v_mov_b32_e32 v29, v36
	v_mov_b32_e32 v3, v7
	v_fmamk_f32 v21, v34, 0x3f737871, v15
	v_pk_mul_f32 v[28:29], v[28:29], s[2:3]
	v_mov_b32_e32 v38, v13
	v_pk_add_f32 v[24:25], v[24:25], v[44:45]
	v_add_f32_e32 v5, v29, v21
	v_fmac_f32_e32 v15, 0xbf737871, v34
	v_pk_add_f32 v[12:13], v[12:13], v[38:39]
	v_pk_add_f32 v[38:39], v[26:27], v[2:3]
	v_pk_add_f32 v[40:41], v[42:43], v[10:11] neg_lo:[0,1] neg_hi:[0,1]
	v_pk_add_f32 v[24:25], v[24:25], v[46:47]
	v_add_f32_e32 v32, v28, v5
	v_sub_f32_e32 v5, v15, v29
	v_fmac_f32_e32 v1, -0.5, v49
	v_mov_b32_e32 v13, v34
	v_pk_fma_f32 v[38:39], v[38:39], 0.5, v[22:23] op_sel_hi:[1,0,1] neg_lo:[1,0,0] neg_hi:[1,0,0]
	v_pk_mul_f32 v[44:45], v[40:41], s[6:7] op_sel_hi:[1,0]
	v_pk_add_f32 v[46:47], v[26:27], v[2:3] neg_lo:[0,1] neg_hi:[0,1]
	v_pk_add_f32 v[50:51], v[42:43], v[26:27] neg_lo:[0,1] neg_hi:[0,1]
	;; [unrolled: 1-line block ×3, first 2 shown]
	v_pk_add_f32 v[6:7], v[22:23], v[42:43]
	v_add_f32_e32 v28, v28, v5
	v_fmamk_f32 v5, v36, 0xbf737871, v1
	v_pk_mul_f32 v[12:13], v[12:13], s[2:3]
	v_fmac_f32_e32 v1, 0x3f737871, v36
	v_pk_mul_f32 v[48:49], v[46:47], s[8:9] op_sel_hi:[1,0]
	v_pk_add_f32 v[50:51], v[50:51], v[52:53]
	v_pk_add_f32 v[52:53], v[38:39], v[44:45] op_sel:[0,1] op_sel_hi:[1,0] neg_lo:[0,1] neg_hi:[0,1]
	v_pk_add_f32 v[38:39], v[38:39], v[44:45] op_sel:[0,1] op_sel_hi:[1,0]
	v_pk_add_f32 v[6:7], v[6:7], v[26:27]
	v_add_f32_e32 v5, v13, v5
	v_sub_f32_e32 v1, v1, v13
	v_pk_add_f32 v[38:39], v[38:39], v[48:49] op_sel:[0,1] op_sel_hi:[1,0]
	v_pk_add_f32 v[44:45], v[52:53], v[48:49] op_sel:[0,1] op_sel_hi:[1,0] neg_lo:[0,1] neg_hi:[0,1]
	v_pk_mul_f32 v[32:33], v[32:33], s[12:13] op_sel_hi:[0,1]
	v_pk_add_f32 v[6:7], v[6:7], v[2:3]
	v_add_f32_e32 v34, v12, v5
	v_add_f32_e32 v12, v12, v1
	v_mov_b32_e32 v48, v44
	v_mov_b32_e32 v49, v39
	v_pk_fma_f32 v[52:53], v[0:1], s[10:11], v[32:33] neg_lo:[0,0,1] neg_hi:[0,0,1]
	v_pk_fma_f32 v[0:1], v[0:1], s[10:11], v[32:33] op_sel_hi:[0,1,1]
	v_pk_add_f32 v[6:7], v[6:7], v[10:11]
	v_pk_fma_f32 v[48:49], v[50:51], s[2:3], v[48:49] op_sel_hi:[1,0,1]
	v_mov_b32_e32 v53, v1
	v_pk_add_f32 v[36:37], v[6:7], v[24:25]
	v_pk_add_f32 v[0:1], v[48:49], v[52:53]
	ds_write2_b64 v30, v[36:37], v[0:1] offset1:60
	v_pk_add_f32 v[0:1], v[42:43], v[10:11]
	s_mov_b32 s7, s2
	v_pk_fma_f32 v[0:1], v[0:1], 0.5, v[22:23] op_sel_hi:[1,0,1] neg_lo:[1,0,0] neg_hi:[1,0,0]
	v_pk_add_f32 v[22:23], v[26:27], v[42:43] neg_lo:[0,1] neg_hi:[0,1]
	v_pk_add_f32 v[2:3], v[2:3], v[10:11] neg_lo:[0,1] neg_hi:[0,1]
	s_mov_b32 s10, s2
	s_mov_b32 s11, s6
	v_pk_mul_f32 v[10:11], v[34:35], s[6:7] op_sel_hi:[0,1]
	v_pk_add_f32 v[2:3], v[22:23], v[2:3]
	v_pk_fma_f32 v[22:23], v[8:9], s[10:11], v[10:11] neg_lo:[0,0,1] neg_hi:[0,0,1]
	v_pk_fma_f32 v[8:9], v[8:9], s[10:11], v[10:11] op_sel_hi:[0,1,1]
	v_mov_b32_e32 v23, v9
	v_pk_mul_f32 v[8:9], v[46:47], s[6:7] op_sel_hi:[1,0]
	v_pk_mul_f32 v[10:11], v[40:41], s[8:9] op_sel_hi:[1,0]
	v_pk_add_f32 v[26:27], v[0:1], v[8:9] op_sel:[0,1] op_sel_hi:[1,0]
	v_pk_add_f32 v[0:1], v[0:1], v[8:9] op_sel:[0,1] op_sel_hi:[1,0] neg_lo:[0,1] neg_hi:[0,1]
	v_pk_add_f32 v[8:9], v[26:27], v[10:11] op_sel:[0,1] op_sel_hi:[1,0] neg_lo:[0,1] neg_hi:[0,1]
	v_pk_add_f32 v[0:1], v[0:1], v[10:11] op_sel:[0,1] op_sel_hi:[1,0]
	v_mov_b32_e32 v10, v8
	v_mov_b32_e32 v11, v1
	s_mov_b32 s8, 0xbe9e377a
	s_mov_b32 s9, s6
	v_pk_mul_f32 v[12:13], v[12:13], s[6:7] op_sel_hi:[0,1]
	v_mov_b32_e32 v1, v9
	v_pk_fma_f32 v[10:11], v[2:3], s[2:3], v[10:11] op_sel_hi:[1,0,1]
	v_pk_fma_f32 v[12:13], v[14:15], s[8:9], v[12:13] op_sel_hi:[0,1,1] neg_lo:[0,0,1] neg_hi:[0,0,1]
	v_pk_fma_f32 v[0:1], v[2:3], s[2:3], v[0:1] op_sel_hi:[1,0,1]
	v_pk_add_f32 v[26:27], v[10:11], v[22:23]
	v_pk_add_f32 v[2:3], v[0:1], v[12:13]
	ds_write2_b64 v30, v[26:27], v[2:3] offset0:120 offset1:180
	s_mov_b32 s6, 0xbf4f1bbd
	s_mov_b32 s7, s3
	v_pk_mul_f32 v[2:3], v[28:29], s[12:13] op_sel_hi:[0,1]
	v_mov_b32_e32 v39, v45
	v_pk_fma_f32 v[2:3], v[4:5], s[6:7], v[2:3] op_sel_hi:[0,1,1] neg_lo:[0,0,1] neg_hi:[0,0,1]
	v_pk_fma_f32 v[4:5], v[50:51], s[2:3], v[38:39] op_sel_hi:[1,0,1]
	v_pk_add_f32 v[6:7], v[6:7], v[24:25] neg_lo:[0,1] neg_hi:[0,1]
	v_pk_add_f32 v[8:9], v[4:5], v[2:3]
	v_add_u32_e32 v14, 0x400, v30
	ds_write2_b64 v14, v[8:9], v[6:7] offset0:112 offset1:172
	v_pk_add_f32 v[6:7], v[48:49], v[52:53] neg_lo:[0,1] neg_hi:[0,1]
	v_pk_add_f32 v[8:9], v[10:11], v[22:23] neg_lo:[0,1] neg_hi:[0,1]
	;; [unrolled: 1-line block ×4, first 2 shown]
	v_add_u32_e32 v4, 0xc00, v30
	ds_write2_b64 v17, v[6:7], v[8:9] offset0:104 offset1:164
	ds_write2_b64 v4, v[0:1], v[2:3] offset0:96 offset1:156
	s_waitcnt lgkmcnt(0)
	; wave barrier
	s_waitcnt lgkmcnt(0)
	ds_read_b64 v[6:7], v30
	s_add_u32 s2, s4, 0x1270
	v_lshlrev_b32_e32 v0, 3, v16
	s_addc_u32 s3, s5, 0
	v_sub_u32_e32 v8, 0, v0
                                        ; implicit-def: $vgpr5
                                        ; implicit-def: $vgpr2_vgpr3
                                        ; implicit-def: $vgpr0_vgpr1
	s_and_saveexec_b64 s[4:5], vcc
	s_xor_b64 s[4:5], exec, s[4:5]
	s_cbranch_execz .LBB0_19
; %bb.18:
	v_mov_b32_e32 v17, 0
	v_lshl_add_u64 v[0:1], v[16:17], 3, s[2:3]
	global_load_dwordx2 v[0:1], v[0:1], off
	ds_read_b64 v[2:3], v8 offset:4800
	v_mov_b32_e32 v5, 0.5
	v_mov_b32_e32 v10, v5
	s_waitcnt lgkmcnt(0)
	v_pk_add_f32 v[12:13], v[2:3], v[6:7]
	v_pk_add_f32 v[2:3], v[6:7], v[2:3] neg_lo:[0,1] neg_hi:[0,1]
	v_mov_b32_e32 v6, v13
	v_mov_b32_e32 v7, v2
	v_pk_mul_f32 v[6:7], v[6:7], 0.5 op_sel_hi:[1,0]
	s_waitcnt vmcnt(0)
	v_mov_b32_e32 v4, v1
	v_mov_b32_e32 v2, v7
	;; [unrolled: 1-line block ×4, first 2 shown]
	v_pk_mul_f32 v[2:3], v[4:5], v[2:3]
	v_pk_mul_f32 v[14:15], v[0:1], v[6:7] op_sel_hi:[0,1]
	v_pk_fma_f32 v[22:23], v[12:13], v[10:11], v[2:3]
	v_pk_fma_f32 v[2:3], v[12:13], v[10:11], v[2:3] neg_lo:[0,0,1] neg_hi:[0,0,1]
	v_pk_fma_f32 v[4:5], v[0:1], v[6:7], v[22:23] op_sel_hi:[0,1,1] neg_lo:[1,0,0] neg_hi:[1,0,0]
	v_pk_fma_f32 v[2:3], v[0:1], v[6:7], v[2:3] op_sel_hi:[0,1,1] neg_lo:[1,0,0] neg_hi:[1,0,0]
	v_add_f32_e32 v4, v22, v14
	v_mov_b64_e32 v[0:1], v[16:17]
                                        ; implicit-def: $vgpr6_vgpr7
.LBB0_19:
	s_andn2_saveexec_b64 s[4:5], s[4:5]
	s_cbranch_execz .LBB0_21
; %bb.20:
	s_waitcnt lgkmcnt(0)
	v_mov_b32_e32 v0, v7
	v_pk_add_f32 v[2:3], v[6:7], v[0:1] neg_lo:[0,1] neg_hi:[0,1]
	v_add_f32_e32 v4, v7, v6
	v_mov_b32_e32 v3, 0
	ds_read_b32 v5, v3 offset:2404
	v_mov_b64_e32 v[0:1], 0
	s_waitcnt lgkmcnt(0)
	v_xor_b32_e32 v5, 0x80000000, v5
	ds_write_b32 v3, v5 offset:2404
	v_mov_b32_e32 v5, v3
.LBB0_21:
	s_or_b64 exec, exec, s[4:5]
	v_mov_b32_e32 v21, 0
	s_waitcnt lgkmcnt(0)
	v_lshl_add_u64 v[6:7], v[20:21], 3, s[2:3]
	global_load_dwordx2 v[6:7], v[6:7], off
	v_lshl_add_u64 v[10:11], v[0:1], 3, s[2:3]
	global_load_dwordx2 v[12:13], v[10:11], off offset:960
	global_load_dwordx2 v[14:15], v[10:11], off offset:1440
	;; [unrolled: 1-line block ×3, first 2 shown]
	ds_write_b64 v30, v[4:5]
	ds_write_b64 v8, v[2:3] offset:4800
	ds_read_b64 v[2:3], v31
	ds_read_b64 v[4:5], v8 offset:4320
	v_mov_b32_e32 v11, 0.5
	v_mov_b32_e32 v22, v11
	s_waitcnt lgkmcnt(0)
	v_pk_add_f32 v[24:25], v[2:3], v[4:5]
	v_pk_add_f32 v[2:3], v[2:3], v[4:5] neg_lo:[0,1] neg_hi:[0,1]
	v_mov_b32_e32 v4, v25
	v_mov_b32_e32 v5, v2
	v_pk_mul_f32 v[4:5], v[4:5], 0.5 op_sel_hi:[1,0]
	s_waitcnt vmcnt(3)
	v_mov_b32_e32 v23, v7
	v_mov_b32_e32 v25, v4
	;; [unrolled: 1-line block ×4, first 2 shown]
	v_pk_mul_f32 v[22:23], v[24:25], v[22:23]
	s_nop 0
	v_pk_fma_f32 v[24:25], v[10:11], v[2:3], v[22:23] neg_lo:[1,0,0] neg_hi:[1,0,0]
	v_pk_fma_f32 v[2:3], v[10:11], v[2:3], v[22:23]
	v_pk_fma_f32 v[22:23], v[6:7], v[4:5], v[24:25] op_sel_hi:[0,1,1] neg_lo:[1,0,0] neg_hi:[1,0,0]
	v_pk_fma_f32 v[24:25], v[6:7], v[4:5], v[2:3] op_sel_hi:[0,1,1]
	v_pk_fma_f32 v[2:3], v[6:7], v[4:5], v[2:3] op_sel_hi:[0,1,1] neg_lo:[1,0,0] neg_hi:[1,0,0]
	v_mov_b32_e32 v25, v3
	ds_write_b64 v31, v[24:25]
	ds_write_b64 v8, v[22:23] offset:4320
	ds_read_b64 v[2:3], v30 offset:960
	ds_read_b64 v[4:5], v8 offset:3840
	v_mov_b32_e32 v6, v11
	s_waitcnt vmcnt(2)
	v_mov_b32_e32 v7, v13
	v_mov_b32_e32 v10, v13
	s_waitcnt lgkmcnt(0)
	v_pk_add_f32 v[22:23], v[2:3], v[4:5]
	v_pk_add_f32 v[2:3], v[2:3], v[4:5] neg_lo:[0,1] neg_hi:[0,1]
	v_mov_b32_e32 v4, v23
	v_mov_b32_e32 v5, v2
	v_pk_mul_f32 v[4:5], v[4:5], 0.5 op_sel_hi:[1,0]
	s_nop 0
	v_mov_b32_e32 v23, v4
	v_mov_b32_e32 v2, v5
	v_pk_mul_f32 v[6:7], v[22:23], v[6:7]
	s_nop 0
	v_pk_fma_f32 v[22:23], v[10:11], v[2:3], v[6:7] neg_lo:[1,0,0] neg_hi:[1,0,0]
	v_pk_fma_f32 v[2:3], v[10:11], v[2:3], v[6:7]
	v_pk_fma_f32 v[6:7], v[12:13], v[4:5], v[22:23] op_sel_hi:[0,1,1] neg_lo:[1,0,0] neg_hi:[1,0,0]
	v_pk_fma_f32 v[22:23], v[12:13], v[4:5], v[2:3] op_sel_hi:[0,1,1]
	v_pk_fma_f32 v[2:3], v[12:13], v[4:5], v[2:3] op_sel_hi:[0,1,1] neg_lo:[1,0,0] neg_hi:[1,0,0]
	v_mov_b32_e32 v23, v3
	ds_write_b64 v30, v[22:23] offset:960
	ds_write_b64 v8, v[6:7] offset:3840
	ds_read_b64 v[2:3], v30 offset:1440
	ds_read_b64 v[4:5], v8 offset:3360
	v_mov_b32_e32 v6, v11
	s_waitcnt vmcnt(1)
	v_mov_b32_e32 v7, v15
	v_mov_b32_e32 v10, v15
	s_waitcnt lgkmcnt(0)
	v_pk_add_f32 v[12:13], v[2:3], v[4:5]
	v_pk_add_f32 v[2:3], v[2:3], v[4:5] neg_lo:[0,1] neg_hi:[0,1]
	v_mov_b32_e32 v4, v13
	v_mov_b32_e32 v5, v2
	v_pk_mul_f32 v[4:5], v[4:5], 0.5 op_sel_hi:[1,0]
	s_nop 0
	v_mov_b32_e32 v13, v4
	v_mov_b32_e32 v2, v5
	v_pk_mul_f32 v[6:7], v[12:13], v[6:7]
	s_nop 0
	v_pk_fma_f32 v[12:13], v[10:11], v[2:3], v[6:7] neg_lo:[1,0,0] neg_hi:[1,0,0]
	v_pk_fma_f32 v[2:3], v[10:11], v[2:3], v[6:7]
	v_pk_fma_f32 v[6:7], v[14:15], v[4:5], v[12:13] op_sel_hi:[0,1,1] neg_lo:[1,0,0] neg_hi:[1,0,0]
	v_pk_fma_f32 v[12:13], v[14:15], v[4:5], v[2:3] op_sel_hi:[0,1,1]
	v_pk_fma_f32 v[2:3], v[14:15], v[4:5], v[2:3] op_sel_hi:[0,1,1] neg_lo:[1,0,0] neg_hi:[1,0,0]
	v_mov_b32_e32 v13, v3
	ds_write_b64 v30, v[12:13] offset:1440
	;; [unrolled: 25-line block ×3, first 2 shown]
	ds_write_b64 v8, v[6:7] offset:2880
	s_waitcnt lgkmcnt(0)
	; wave barrier
	s_waitcnt lgkmcnt(0)
	s_and_saveexec_b64 s[2:3], s[0:1]
	s_cbranch_execz .LBB0_24
; %bb.22:
	ds_read2_b64 v[2:5], v30 offset1:60
	ds_read2_b64 v[6:9], v30 offset0:120 offset1:180
	v_lshl_add_u64 v[12:13], v[0:1], 3, v[18:19]
	v_add_u32_e32 v0, 0x400, v30
	s_waitcnt lgkmcnt(1)
	global_store_dwordx2 v[12:13], v[2:3], off
	global_store_dwordx2 v[12:13], v[4:5], off offset:480
	s_waitcnt lgkmcnt(0)
	global_store_dwordx2 v[12:13], v[6:7], off offset:960
	global_store_dwordx2 v[12:13], v[8:9], off offset:1440
	ds_read2_b64 v[0:3], v0 offset0:112 offset1:172
	v_add_u32_e32 v4, 0x800, v30
	ds_read2_b64 v[4:7], v4 offset0:104 offset1:164
	v_add_u32_e32 v8, 0xc00, v30
	ds_read2_b64 v[8:11], v8 offset0:96 offset1:156
	s_waitcnt lgkmcnt(2)
	global_store_dwordx2 v[12:13], v[0:1], off offset:1920
	global_store_dwordx2 v[12:13], v[2:3], off offset:2400
	s_waitcnt lgkmcnt(1)
	global_store_dwordx2 v[12:13], v[4:5], off offset:2880
	global_store_dwordx2 v[12:13], v[6:7], off offset:3360
	s_waitcnt lgkmcnt(0)
	global_store_dwordx2 v[12:13], v[8:9], off offset:3840
	v_add_co_u32_e32 v0, vcc, 0x1000, v12
	s_nop 1
	v_addc_co_u32_e32 v1, vcc, 0, v13, vcc
	v_cmp_eq_u32_e32 vcc, 59, v16
	global_store_dwordx2 v[0:1], v[10:11], off offset:224
	s_and_b64 exec, exec, vcc
	s_cbranch_execz .LBB0_24
; %bb.23:
	v_mov_b32_e32 v0, 0
	ds_read_b64 v[0:1], v0 offset:4800
	v_add_co_u32_e32 v2, vcc, 0x1000, v18
	s_nop 1
	v_addc_co_u32_e32 v3, vcc, 0, v19, vcc
	s_waitcnt lgkmcnt(0)
	global_store_dwordx2 v[2:3], v[0:1], off offset:704
.LBB0_24:
	s_endpgm
	.section	.rodata,"a",@progbits
	.p2align	6, 0x0
	.amdhsa_kernel fft_rtc_back_len600_factors_10_6_10_wgs_60_tpt_60_halfLds_sp_ip_CI_unitstride_sbrr_R2C_dirReg
		.amdhsa_group_segment_fixed_size 0
		.amdhsa_private_segment_fixed_size 0
		.amdhsa_kernarg_size 88
		.amdhsa_user_sgpr_count 2
		.amdhsa_user_sgpr_dispatch_ptr 0
		.amdhsa_user_sgpr_queue_ptr 0
		.amdhsa_user_sgpr_kernarg_segment_ptr 1
		.amdhsa_user_sgpr_dispatch_id 0
		.amdhsa_user_sgpr_kernarg_preload_length 0
		.amdhsa_user_sgpr_kernarg_preload_offset 0
		.amdhsa_user_sgpr_private_segment_size 0
		.amdhsa_uses_dynamic_stack 0
		.amdhsa_enable_private_segment 0
		.amdhsa_system_sgpr_workgroup_id_x 1
		.amdhsa_system_sgpr_workgroup_id_y 0
		.amdhsa_system_sgpr_workgroup_id_z 0
		.amdhsa_system_sgpr_workgroup_info 0
		.amdhsa_system_vgpr_workitem_id 0
		.amdhsa_next_free_vgpr 62
		.amdhsa_next_free_sgpr 22
		.amdhsa_accum_offset 64
		.amdhsa_reserve_vcc 1
		.amdhsa_float_round_mode_32 0
		.amdhsa_float_round_mode_16_64 0
		.amdhsa_float_denorm_mode_32 3
		.amdhsa_float_denorm_mode_16_64 3
		.amdhsa_dx10_clamp 1
		.amdhsa_ieee_mode 1
		.amdhsa_fp16_overflow 0
		.amdhsa_tg_split 0
		.amdhsa_exception_fp_ieee_invalid_op 0
		.amdhsa_exception_fp_denorm_src 0
		.amdhsa_exception_fp_ieee_div_zero 0
		.amdhsa_exception_fp_ieee_overflow 0
		.amdhsa_exception_fp_ieee_underflow 0
		.amdhsa_exception_fp_ieee_inexact 0
		.amdhsa_exception_int_div_zero 0
	.end_amdhsa_kernel
	.text
.Lfunc_end0:
	.size	fft_rtc_back_len600_factors_10_6_10_wgs_60_tpt_60_halfLds_sp_ip_CI_unitstride_sbrr_R2C_dirReg, .Lfunc_end0-fft_rtc_back_len600_factors_10_6_10_wgs_60_tpt_60_halfLds_sp_ip_CI_unitstride_sbrr_R2C_dirReg
                                        ; -- End function
	.section	.AMDGPU.csdata,"",@progbits
; Kernel info:
; codeLenInByte = 6364
; NumSgprs: 28
; NumVgprs: 62
; NumAgprs: 0
; TotalNumVgprs: 62
; ScratchSize: 0
; MemoryBound: 0
; FloatMode: 240
; IeeeMode: 1
; LDSByteSize: 0 bytes/workgroup (compile time only)
; SGPRBlocks: 3
; VGPRBlocks: 7
; NumSGPRsForWavesPerEU: 28
; NumVGPRsForWavesPerEU: 62
; AccumOffset: 64
; Occupancy: 8
; WaveLimiterHint : 1
; COMPUTE_PGM_RSRC2:SCRATCH_EN: 0
; COMPUTE_PGM_RSRC2:USER_SGPR: 2
; COMPUTE_PGM_RSRC2:TRAP_HANDLER: 0
; COMPUTE_PGM_RSRC2:TGID_X_EN: 1
; COMPUTE_PGM_RSRC2:TGID_Y_EN: 0
; COMPUTE_PGM_RSRC2:TGID_Z_EN: 0
; COMPUTE_PGM_RSRC2:TIDIG_COMP_CNT: 0
; COMPUTE_PGM_RSRC3_GFX90A:ACCUM_OFFSET: 15
; COMPUTE_PGM_RSRC3_GFX90A:TG_SPLIT: 0
	.text
	.p2alignl 6, 3212836864
	.fill 256, 4, 3212836864
	.type	__hip_cuid_d980c377f60bef9e,@object ; @__hip_cuid_d980c377f60bef9e
	.section	.bss,"aw",@nobits
	.globl	__hip_cuid_d980c377f60bef9e
__hip_cuid_d980c377f60bef9e:
	.byte	0                               ; 0x0
	.size	__hip_cuid_d980c377f60bef9e, 1

	.ident	"AMD clang version 19.0.0git (https://github.com/RadeonOpenCompute/llvm-project roc-6.4.0 25133 c7fe45cf4b819c5991fe208aaa96edf142730f1d)"
	.section	".note.GNU-stack","",@progbits
	.addrsig
	.addrsig_sym __hip_cuid_d980c377f60bef9e
	.amdgpu_metadata
---
amdhsa.kernels:
  - .agpr_count:     0
    .args:
      - .actual_access:  read_only
        .address_space:  global
        .offset:         0
        .size:           8
        .value_kind:     global_buffer
      - .offset:         8
        .size:           8
        .value_kind:     by_value
      - .actual_access:  read_only
        .address_space:  global
        .offset:         16
        .size:           8
        .value_kind:     global_buffer
      - .actual_access:  read_only
        .address_space:  global
        .offset:         24
        .size:           8
        .value_kind:     global_buffer
      - .offset:         32
        .size:           8
        .value_kind:     by_value
      - .actual_access:  read_only
        .address_space:  global
        .offset:         40
        .size:           8
        .value_kind:     global_buffer
      - .actual_access:  read_only
        .address_space:  global
        .offset:         48
        .size:           8
        .value_kind:     global_buffer
      - .offset:         56
        .size:           4
        .value_kind:     by_value
      - .actual_access:  read_only
        .address_space:  global
        .offset:         64
        .size:           8
        .value_kind:     global_buffer
      - .actual_access:  read_only
        .address_space:  global
        .offset:         72
        .size:           8
        .value_kind:     global_buffer
      - .address_space:  global
        .offset:         80
        .size:           8
        .value_kind:     global_buffer
    .group_segment_fixed_size: 0
    .kernarg_segment_align: 8
    .kernarg_segment_size: 88
    .language:       OpenCL C
    .language_version:
      - 2
      - 0
    .max_flat_workgroup_size: 60
    .name:           fft_rtc_back_len600_factors_10_6_10_wgs_60_tpt_60_halfLds_sp_ip_CI_unitstride_sbrr_R2C_dirReg
    .private_segment_fixed_size: 0
    .sgpr_count:     28
    .sgpr_spill_count: 0
    .symbol:         fft_rtc_back_len600_factors_10_6_10_wgs_60_tpt_60_halfLds_sp_ip_CI_unitstride_sbrr_R2C_dirReg.kd
    .uniform_work_group_size: 1
    .uses_dynamic_stack: false
    .vgpr_count:     62
    .vgpr_spill_count: 0
    .wavefront_size: 64
amdhsa.target:   amdgcn-amd-amdhsa--gfx950
amdhsa.version:
  - 1
  - 2
...

	.end_amdgpu_metadata
